;; amdgpu-corpus repo=ROCm/rocFFT kind=compiled arch=gfx1030 opt=O3
	.text
	.amdgcn_target "amdgcn-amd-amdhsa--gfx1030"
	.amdhsa_code_object_version 6
	.protected	fft_rtc_back_len49_factors_7_7_wgs_196_tpt_7_dp_op_CI_CI_sbrc_z_xy_aligned ; -- Begin function fft_rtc_back_len49_factors_7_7_wgs_196_tpt_7_dp_op_CI_CI_sbrc_z_xy_aligned
	.globl	fft_rtc_back_len49_factors_7_7_wgs_196_tpt_7_dp_op_CI_CI_sbrc_z_xy_aligned
	.p2align	8
	.type	fft_rtc_back_len49_factors_7_7_wgs_196_tpt_7_dp_op_CI_CI_sbrc_z_xy_aligned,@function
fft_rtc_back_len49_factors_7_7_wgs_196_tpt_7_dp_op_CI_CI_sbrc_z_xy_aligned: ; @fft_rtc_back_len49_factors_7_7_wgs_196_tpt_7_dp_op_CI_CI_sbrc_z_xy_aligned
; %bb.0:
	s_clause 0x1
	s_load_dwordx8 s[8:15], s[4:5], 0x0
	s_load_dwordx2 s[22:23], s[4:5], 0x20
	s_mov_b32 s21, 0
	s_mov_b32 s28, 0xb247c609
	s_mov_b32 s24, 0x5476071b
	s_mov_b32 s29, 0xbfd5d0dc
	s_mov_b32 s25, 0x3fe77f67
	s_mov_b32 s27, 0xbfe77f67
	s_mov_b32 s31, 0x3fd5d0dc
	s_mov_b32 s26, s24
	s_mov_b32 s30, s28
	s_mov_b32 s34, 0x37c3f68c
	s_mov_b32 s35, 0xbfdc38aa
	s_waitcnt lgkmcnt(0)
	s_load_dwordx4 s[0:3], s[12:13], 0x8
	s_load_dword s37, s[22:23], 0x10
	s_waitcnt lgkmcnt(0)
	s_add_i32 s0, s0, -1
	s_lshr_b32 s0, s0, 2
	s_mul_hi_u32 s0, s0, 0x24924925
	s_add_i32 s7, s0, 1
	s_mul_i32 s1, s7, s2
	v_cvt_f32_u32_e32 v2, s7
	v_cvt_f32_u32_e32 v1, s1
	s_sub_i32 s3, 0, s1
	v_rcp_iflag_f32_e32 v2, v2
	v_rcp_iflag_f32_e32 v1, v1
	v_mul_f32_e32 v1, 0x4f7ffffe, v1
	v_cvt_u32_f32_e32 v1, v1
	v_readfirstlane_b32 s2, v1
	v_mul_f32_e32 v1, 0x4f7ffffe, v2
	s_mul_i32 s3, s3, s2
	v_cvt_u32_f32_e32 v1, v1
	s_mul_hi_u32 s3, s2, s3
	s_add_i32 s2, s2, s3
	s_mul_hi_u32 s2, s6, s2
	v_readfirstlane_b32 s16, v1
	s_mul_i32 s3, s2, s1
	s_add_i32 s12, s2, 1
	s_sub_i32 s3, s6, s3
	v_mul_u32_u24_e32 v1, 0x53a, v0
	s_sub_i32 s13, s3, s1
	s_cmp_ge_u32 s3, s1
	s_cselect_b32 s2, s12, s2
	s_cselect_b32 s3, s13, s3
	s_add_i32 s12, s2, 1
	s_cmp_ge_u32 s3, s1
	v_lshrrev_b32_e32 v32, 16, v1
	s_cselect_b32 s33, s12, s2
	s_not_b32 s0, s0
	s_mul_i32 s1, s33, s1
	s_mul_i32 s0, s0, s16
	s_sub_i32 s1, s6, s1
	s_mul_hi_u32 s0, s16, s0
	s_load_dword s12, s[14:15], 0x10
	s_add_i32 s0, s16, s0
	s_load_dwordx4 s[16:19], s[14:15], 0x0
	s_mul_hi_u32 s2, s1, s0
	s_waitcnt lgkmcnt(0)
	s_mul_hi_u32 s19, s6, s0
	s_mul_i32 s3, s2, s7
	s_mul_i32 s19, s19, s7
	s_sub_i32 s1, s1, s3
	s_add_i32 s3, s2, 1
	s_sub_i32 s13, s1, s7
	s_cmp_ge_u32 s1, s7
	v_mul_lo_u16 v1, v32, 49
	s_cselect_b32 s20, s3, s2
	s_cselect_b32 s13, s13, s1
	s_load_dwordx4 s[0:3], s[22:23], 0x0
	s_waitcnt lgkmcnt(0)
	s_add_i32 s3, s20, 1
	s_cmp_ge_u32 s13, s7
	v_sub_nc_u16 v1, v0, v1
	s_cselect_b32 s36, s3, s20
	s_sub_i32 s3, s6, s19
	s_mul_i32 s13, s36, s12
	s_sub_i32 s6, s3, s7
	s_cmp_ge_u32 s3, s7
	v_and_b32_e32 v33, 0xffff, v1
	s_cselect_b32 s3, s6, s3
	s_sub_i32 s6, s3, s7
	s_cmp_ge_u32 s3, s7
	v_mad_u64_u32 v[3:4], null, s16, v33, 0
	s_cselect_b32 s3, s6, s3
	s_lshl_b64 s[6:7], s[10:11], 3
	s_mul_i32 s12, s3, 28
	s_mul_i32 s3, s12, s18
	;; [unrolled: 1-line block ×3, first 2 shown]
	s_mul_hi_u32 s11, s0, s12
	s_add_i32 s20, s3, s13
	s_add_i32 s13, s11, s10
	s_add_u32 s10, s14, s6
	s_addc_u32 s11, s15, s7
	v_mov_b32_e32 v1, v4
	s_load_dwordx2 s[14:15], s[10:11], 0x0
	v_mad_u64_u32 v[4:5], null, s17, v33, v[1:2]
	v_mul_lo_u32 v1, s18, v32
	v_mov_b32_e32 v2, 0
	v_mul_u32_u24_e32 v32, 0x310, v32
	v_lshlrev_b32_e32 v33, 4, v33
	s_mov_b32 s16, 0x429ad128
	s_mov_b32 s17, 0xbfebfeb5
	v_lshlrev_b64 v[3:4], 4, v[3:4]
	v_lshlrev_b64 v[5:6], 4, v[1:2]
	v_add3_u32 v32, 0, v32, v33
	s_waitcnt lgkmcnt(0)
	s_mul_i32 s3, s15, s33
	s_mul_hi_u32 s10, s14, s33
	s_mul_i32 s14, s14, s33
	s_add_i32 s15, s10, s3
	s_add_u32 s6, s22, s6
	s_addc_u32 s7, s23, s7
	s_load_dwordx2 s[10:11], s[6:7], 0x0
	s_load_dwordx4 s[4:7], s[4:5], 0x58
	s_lshl_b64 s[14:15], s[14:15], 4
	v_add_nc_u32_e32 v33, 0x3000, v32
	v_add_nc_u32_e32 v35, 0x4800, v32
	s_mov_b32 s22, 0xe976ee23
	s_mov_b32 s23, 0x3fe11646
	s_waitcnt lgkmcnt(0)
	s_mul_i32 s3, s11, s33
	s_mul_hi_u32 s11, s10, s33
	s_add_i32 s3, s11, s3
	s_add_u32 s11, s4, s14
	s_addc_u32 s14, s5, s15
	s_lshl_b64 s[4:5], s[20:21], 4
	s_mul_i32 s20, s36, s2
	s_add_u32 s4, s11, s4
	s_addc_u32 s5, s14, s5
	s_lshl_b32 s11, s18, 2
	v_add_co_u32 v22, vcc_lo, s4, v3
	v_add_nc_u32_e32 v1, s11, v1
	v_add_co_ci_u32_e32 v23, vcc_lo, s5, v4, vcc_lo
	v_add_co_u32 v5, vcc_lo, v22, v5
	v_lshlrev_b64 v[3:4], 4, v[1:2]
	v_add_nc_u32_e32 v1, s11, v1
	v_add_co_ci_u32_e32 v6, vcc_lo, v23, v6, vcc_lo
	s_mov_b32 s14, 0x37e14327
	s_mov_b32 s15, 0x3fe948f6
	v_lshlrev_b64 v[12:13], 4, v[1:2]
	v_add_nc_u32_e32 v1, s11, v1
	v_add_co_u32 v8, vcc_lo, v22, v3
	v_add_co_ci_u32_e32 v9, vcc_lo, v23, v4, vcc_lo
	v_lshlrev_b64 v[14:15], 4, v[1:2]
	v_add_nc_u32_e32 v1, s11, v1
	v_add_co_u32 v12, vcc_lo, v22, v12
	v_add_co_ci_u32_e32 v13, vcc_lo, v23, v13, vcc_lo
	;; [unrolled: 4-line block ×4, first 2 shown]
	v_lshlrev_b64 v[16:17], 4, v[1:2]
	v_add_co_u32 v24, vcc_lo, v22, v14
	v_add_co_ci_u32_e32 v25, vcc_lo, v23, v15, vcc_lo
	s_clause 0x1
	global_load_dwordx4 v[4:7], v[5:6], off
	global_load_dwordx4 v[8:11], v[8:9], off
	v_add_co_u32 v28, vcc_lo, v22, v16
	v_add_co_ci_u32_e32 v29, vcc_lo, v23, v17, vcc_lo
	s_clause 0x4
	global_load_dwordx4 v[12:15], v[12:13], off
	global_load_dwordx4 v[16:19], v[18:19], off
	;; [unrolled: 1-line block ×5, first 2 shown]
	v_mul_u32_u24_e32 v1, 0x2493, v0
	s_mov_b32 s4, 0x36b3c0b5
	s_mov_b32 s5, 0x3fac98ee
	;; [unrolled: 1-line block ×4, first 2 shown]
	v_lshrrev_b32_e32 v1, 16, v1
	s_mul_i32 s2, s10, s33
	v_add_nc_u32_e32 v3, s12, v1
	v_mul_lo_u16 v1, v1, 7
	s_mul_i32 s12, s0, s12
	v_lshrrev_b32_e32 v34, 2, v3
	v_sub_nc_u16 v1, v0, v1
	v_mul_hi_u32 v34, 0x24924925, v34
	v_and_b32_e32 v52, 0xffff, v1
	v_lshlrev_b32_e32 v36, 4, v52
	v_mul_lo_u32 v34, v34, 28
	v_sub_nc_u32_e32 v3, v3, v34
	v_add_nc_u32_e32 v34, 0x3800, v32
	s_waitcnt vmcnt(6)
	ds_write_b128 v32, v[4:7]
	s_waitcnt vmcnt(5)
	ds_write_b128 v32, v[8:11] offset:3136
	s_waitcnt vmcnt(4)
	ds_write_b128 v32, v[12:15] offset:6272
	s_waitcnt vmcnt(3)
	ds_write_b128 v32, v[16:19] offset:9408
	s_waitcnt vmcnt(2)
	ds_write2_b64 v33, v[20:21], v[22:23] offset0:32 offset1:33
	s_waitcnt vmcnt(1)
	ds_write2_b64 v34, v[24:25], v[26:27] offset0:168 offset1:169
	;; [unrolled: 2-line block ×3, first 2 shown]
	v_mul_u32_u24_e32 v1, 49, v3
	s_waitcnt lgkmcnt(0)
	s_barrier
	buffer_gl0_inv
	v_lshlrev_b32_e32 v1, 4, v1
	v_add3_u32 v3, 0, v36, v1
	ds_read_b128 v[4:7], v3 offset:112
	ds_read_b128 v[8:11], v3 offset:672
	;; [unrolled: 1-line block ×6, first 2 shown]
	v_add3_u32 v1, 0, v1, v36
	s_waitcnt lgkmcnt(4)
	v_add_f64 v[28:29], v[4:5], v[8:9]
	v_add_f64 v[30:31], v[6:7], v[10:11]
	s_waitcnt lgkmcnt(2)
	v_add_f64 v[32:33], v[16:17], v[12:13]
	v_add_f64 v[34:35], v[18:19], v[14:15]
	v_add_f64 v[12:13], v[16:17], -v[12:13]
	v_add_f64 v[14:15], v[18:19], -v[14:15]
	s_waitcnt lgkmcnt(0)
	v_add_f64 v[16:17], v[24:25], v[20:21]
	v_add_f64 v[18:19], v[26:27], v[22:23]
	v_add_f64 v[20:21], v[20:21], -v[24:25]
	v_add_f64 v[22:23], v[22:23], -v[26:27]
	;; [unrolled: 1-line block ×4, first 2 shown]
	ds_read_b128 v[4:7], v1
	s_waitcnt lgkmcnt(0)
	s_barrier
	buffer_gl0_inv
	v_add_f64 v[24:25], v[32:33], v[28:29]
	v_add_f64 v[26:27], v[34:35], v[30:31]
	v_add_f64 v[36:37], v[28:29], -v[16:17]
	v_add_f64 v[38:39], v[30:31], -v[18:19]
	;; [unrolled: 1-line block ×6, first 2 shown]
	v_add_f64 v[12:13], v[20:21], v[12:13]
	v_add_f64 v[14:15], v[22:23], v[14:15]
	v_add_f64 v[20:21], v[8:9], -v[20:21]
	v_add_f64 v[22:23], v[10:11], -v[22:23]
	;; [unrolled: 1-line block ×4, first 2 shown]
	v_add_f64 v[24:25], v[16:17], v[24:25]
	v_add_f64 v[26:27], v[18:19], v[26:27]
	v_add_f64 v[16:17], v[16:17], -v[32:33]
	v_add_f64 v[18:19], v[18:19], -v[34:35]
	v_mul_f64 v[36:37], v[36:37], s[14:15]
	v_mul_f64 v[38:39], v[38:39], s[14:15]
	;; [unrolled: 1-line block ×6, first 2 shown]
	v_add_f64 v[8:9], v[12:13], v[8:9]
	v_add_f64 v[10:11], v[14:15], v[10:11]
	v_add_f64 v[4:5], v[4:5], v[24:25]
	v_add_f64 v[6:7], v[6:7], v[26:27]
	v_mul_f64 v[32:33], v[16:17], s[4:5]
	v_mul_f64 v[34:35], v[18:19], s[4:5]
	v_fma_f64 v[12:13], v[16:17], s[4:5], v[36:37]
	v_fma_f64 v[14:15], v[18:19], s[4:5], v[38:39]
	;; [unrolled: 1-line block ×4, first 2 shown]
	v_fma_f64 v[20:21], v[20:21], s[30:31], -v[48:49]
	v_fma_f64 v[22:23], v[22:23], s[30:31], -v[50:51]
	;; [unrolled: 1-line block ×6, first 2 shown]
	v_fma_f64 v[24:25], v[24:25], s[18:19], v[4:5]
	v_fma_f64 v[26:27], v[26:27], s[18:19], v[6:7]
	v_fma_f64 v[28:29], v[28:29], s[24:25], -v[32:33]
	v_fma_f64 v[30:31], v[30:31], s[24:25], -v[34:35]
	v_fma_f64 v[32:33], v[8:9], s[34:35], v[16:17]
	v_fma_f64 v[34:35], v[10:11], s[34:35], v[18:19]
	;; [unrolled: 1-line block ×6, first 2 shown]
	v_add_f64 v[48:49], v[12:13], v[24:25]
	v_add_f64 v[50:51], v[14:15], v[26:27]
	;; [unrolled: 1-line block ×7, first 2 shown]
	v_add_f64 v[10:11], v[50:51], -v[32:33]
	v_add_f64 v[12:13], v[36:37], v[46:47]
	v_add_f64 v[14:15], v[38:39], -v[44:45]
	v_add_f64 v[16:17], v[20:21], -v[42:43]
	v_add_f64 v[18:19], v[40:41], v[22:23]
	v_add_f64 v[20:21], v[20:21], v[42:43]
	v_add_f64 v[22:23], v[22:23], -v[40:41]
	v_add_f64 v[24:25], v[36:37], -v[46:47]
	v_add_f64 v[26:27], v[44:45], v[38:39]
	v_add_f64 v[28:29], v[48:49], -v[34:35]
	v_add_f64 v[30:31], v[32:33], v[50:51]
	v_mul_u32_u24_e32 v32, 6, v52
	v_mad_u32_u24 v33, 0x60, v52, v3
	ds_write_b128 v33, v[4:7]
	ds_write_b128 v33, v[8:11] offset:16
	ds_write_b128 v33, v[12:15] offset:32
	ds_write_b128 v33, v[16:19] offset:48
	ds_write_b128 v33, v[20:23] offset:64
	ds_write_b128 v33, v[24:27] offset:80
	ds_write_b128 v33, v[28:31] offset:96
	v_lshlrev_b32_e32 v32, 4, v32
	s_waitcnt lgkmcnt(0)
	s_barrier
	buffer_gl0_inv
	s_clause 0x5
	global_load_dwordx4 v[4:7], v32, s[8:9]
	global_load_dwordx4 v[8:11], v32, s[8:9] offset:16
	global_load_dwordx4 v[12:15], v32, s[8:9] offset:80
	global_load_dwordx4 v[16:19], v32, s[8:9] offset:64
	global_load_dwordx4 v[20:23], v32, s[8:9] offset:32
	global_load_dwordx4 v[24:27], v32, s[8:9] offset:48
	ds_read_b128 v[28:31], v3 offset:112
	ds_read_b128 v[32:35], v3 offset:224
	;; [unrolled: 1-line block ×5, first 2 shown]
	s_mul_i32 s8, s37, 7
	s_waitcnt vmcnt(5) lgkmcnt(4)
	v_mul_f64 v[48:49], v[30:31], v[6:7]
	s_waitcnt vmcnt(4) lgkmcnt(3)
	v_mul_f64 v[50:51], v[34:35], v[10:11]
	v_mul_f64 v[10:11], v[32:33], v[10:11]
	;; [unrolled: 1-line block ×3, first 2 shown]
	s_waitcnt vmcnt(2) lgkmcnt(0)
	v_mul_f64 v[52:53], v[46:47], v[18:19]
	v_fma_f64 v[28:29], v[28:29], v[4:5], v[48:49]
	v_mul_f64 v[48:49], v[38:39], v[14:15]
	v_mul_f64 v[14:15], v[36:37], v[14:15]
	v_fma_f64 v[32:33], v[32:33], v[8:9], v[50:51]
	v_fma_f64 v[8:9], v[34:35], v[8:9], -v[10:11]
	v_mul_f64 v[10:11], v[44:45], v[18:19]
	v_fma_f64 v[30:31], v[30:31], v[4:5], -v[6:7]
	ds_read_b128 v[4:7], v3 offset:448
	s_waitcnt vmcnt(1)
	v_mul_f64 v[18:19], v[42:43], v[22:23]
	v_mul_f64 v[22:23], v[40:41], v[22:23]
	v_fma_f64 v[36:37], v[36:37], v[12:13], v[48:49]
	v_fma_f64 v[12:13], v[38:39], v[12:13], -v[14:15]
	s_waitcnt vmcnt(0) lgkmcnt(0)
	v_mul_f64 v[34:35], v[6:7], v[26:27]
	v_mul_f64 v[14:15], v[4:5], v[26:27]
	v_fma_f64 v[26:27], v[44:45], v[16:17], v[52:53]
	v_fma_f64 v[10:11], v[46:47], v[16:17], -v[10:11]
	v_fma_f64 v[16:17], v[40:41], v[20:21], v[18:19]
	v_fma_f64 v[18:19], v[42:43], v[20:21], -v[22:23]
	v_mov_b32_e32 v44, 4
	v_add_f64 v[20:21], v[30:31], v[12:13]
	v_add_f64 v[12:13], v[30:31], -v[12:13]
	v_fma_f64 v[4:5], v[4:5], v[24:25], v[34:35]
	v_fma_f64 v[6:7], v[6:7], v[24:25], -v[14:15]
	v_add_f64 v[14:15], v[28:29], v[36:37]
	v_add_f64 v[22:23], v[32:33], v[26:27]
	;; [unrolled: 1-line block ×3, first 2 shown]
	v_mul_u32_u24_e32 v34, 0x925, v0
	v_add_f64 v[26:27], v[32:33], -v[26:27]
	v_add_f64 v[8:9], v[8:9], -v[10:11]
	;; [unrolled: 1-line block ×3, first 2 shown]
	v_lshrrev_b32_e32 v53, 16, v34
	v_lshlrev_b32_e32 v48, 4, v53
	v_add_f64 v[10:11], v[16:17], v[4:5]
	v_add_f64 v[32:33], v[18:19], v[6:7]
	v_add_f64 v[16:17], v[4:5], -v[16:17]
	v_add_f64 v[18:19], v[6:7], -v[18:19]
	v_add_f64 v[30:31], v[22:23], v[14:15]
	v_add_f64 v[34:35], v[24:25], v[20:21]
	v_mul_lo_u16 v4, v53, 28
	v_add_f64 v[46:47], v[8:9], -v[12:13]
	v_sub_nc_u16 v0, v0, v4
	ds_read_b128 v[4:7], v1
	s_waitcnt lgkmcnt(0)
	s_barrier
	buffer_gl0_inv
	v_mul_lo_u16 v45, v0, 49
	v_and_b32_e32 v49, 0xffff, v0
	v_lshlrev_b32_sdwa v50, v44, v45 dst_sel:DWORD dst_unused:UNUSED_PAD src0_sel:DWORD src1_sel:WORD_0
	v_add_f64 v[0:1], v[14:15], -v[10:11]
	v_add_f64 v[36:37], v[20:21], -v[32:33]
	;; [unrolled: 1-line block ×5, first 2 shown]
	v_add_f64 v[30:31], v[10:11], v[30:31]
	v_add_f64 v[34:35], v[32:33], v[34:35]
	v_add_f64 v[10:11], v[10:11], -v[22:23]
	v_add_f64 v[32:33], v[32:33], -v[24:25]
	v_mad_u64_u32 v[42:43], null, s0, v49, 0
	v_add3_u32 v58, 0, v50, v48
	v_add3_u32 v59, 0, v48, v50
	v_add_f64 v[26:27], v[16:17], v[26:27]
	v_add_f64 v[8:9], v[18:19], v[8:9]
	v_add_f64 v[16:17], v[28:29], -v[16:17]
	v_add_f64 v[18:19], v[12:13], -v[18:19]
	;; [unrolled: 1-line block ×4, first 2 shown]
	v_mul_f64 v[24:25], v[46:47], s[16:17]
	v_mul_f64 v[0:1], v[0:1], s[14:15]
	;; [unrolled: 1-line block ×5, first 2 shown]
	v_mad_u64_u32 v[48:49], null, s1, v49, v[43:44]
	v_mul_f64 v[22:23], v[44:45], s[16:17]
	v_add_f64 v[4:5], v[4:5], v[30:31]
	v_add_f64 v[6:7], v[6:7], v[34:35]
	v_mul_f64 v[49:50], v[10:11], s[4:5]
	v_mul_f64 v[51:52], v[32:33], s[4:5]
	s_lshl_b64 s[0:1], s[12:13], 4
	v_mov_b32_e32 v43, v48
	v_add_f64 v[26:27], v[26:27], v[28:29]
	v_add_f64 v[8:9], v[8:9], v[12:13]
	s_add_u32 s6, s6, s0
	s_addc_u32 s7, s7, s1
	s_lshl_b64 s[0:1], s[20:21], 4
	v_fma_f64 v[10:11], v[10:11], s[4:5], v[0:1]
	v_fma_f64 v[12:13], v[32:33], s[4:5], v[36:37]
	;; [unrolled: 1-line block ×4, first 2 shown]
	v_fma_f64 v[18:19], v[18:19], s[30:31], -v[24:25]
	v_fma_f64 v[38:39], v[44:45], s[16:17], -v[38:39]
	;; [unrolled: 1-line block ×3, first 2 shown]
	v_fma_f64 v[22:23], v[30:31], s[18:19], v[4:5]
	v_fma_f64 v[24:25], v[34:35], s[18:19], v[6:7]
	v_fma_f64 v[40:41], v[46:47], s[16:17], -v[40:41]
	v_fma_f64 v[30:31], v[14:15], s[24:25], -v[49:50]
	v_fma_f64 v[34:35], v[20:21], s[24:25], -v[51:52]
	v_fma_f64 v[14:15], v[14:15], s[26:27], -v[0:1]
	v_fma_f64 v[20:21], v[20:21], s[26:27], -v[36:37]
	v_mul_lo_u32 v1, s37, v53
	v_lshlrev_b64 v[36:37], 4, v[42:43]
	s_add_u32 s4, s6, s0
	s_addc_u32 s5, s7, s1
	s_lshl_b64 s[0:1], s[2:3], 4
	s_add_u32 s0, s4, s0
	s_addc_u32 s1, s5, s1
	v_lshlrev_b64 v[42:43], 4, v[1:2]
	v_add_nc_u32_e32 v1, s8, v1
	v_fma_f64 v[44:45], v[26:27], s[34:35], v[28:29]
	v_fma_f64 v[28:29], v[8:9], s[34:35], v[32:33]
	v_add_co_u32 v60, vcc_lo, s0, v36
	v_fma_f64 v[32:33], v[26:27], s[34:35], v[38:39]
	v_add_f64 v[46:47], v[10:11], v[22:23]
	v_add_f64 v[48:49], v[12:13], v[24:25]
	v_fma_f64 v[38:39], v[8:9], s[34:35], v[40:41]
	v_fma_f64 v[26:27], v[26:27], s[34:35], v[16:17]
	;; [unrolled: 1-line block ×3, first 2 shown]
	v_add_f64 v[50:51], v[14:15], v[22:23]
	v_add_f64 v[52:53], v[20:21], v[24:25]
	;; [unrolled: 1-line block ×4, first 2 shown]
	v_add_co_ci_u32_e32 v61, vcc_lo, s1, v37, vcc_lo
	v_lshlrev_b64 v[8:9], 4, v[1:2]
	v_add_co_u32 v36, vcc_lo, v60, v42
	v_add_co_ci_u32_e32 v37, vcc_lo, v61, v43, vcc_lo
	v_add_nc_u32_e32 v1, s8, v1
	v_add_co_u32 v54, vcc_lo, v60, v8
	v_add_co_ci_u32_e32 v55, vcc_lo, v61, v9, vcc_lo
	v_lshlrev_b64 v[42:43], 4, v[1:2]
	v_add_f64 v[8:9], v[28:29], v[46:47]
	v_add_f64 v[10:11], v[48:49], -v[44:45]
	v_add_f64 v[28:29], v[46:47], -v[28:29]
	v_add_nc_u32_e32 v1, s8, v1
	v_add_f64 v[12:13], v[40:41], v[50:51]
	v_add_f64 v[14:15], v[52:53], -v[26:27]
	v_add_f64 v[16:17], v[30:31], -v[38:39]
	v_add_f64 v[18:19], v[32:33], v[34:35]
	v_add_f64 v[20:21], v[38:39], v[30:31]
	v_add_f64 v[22:23], v[34:35], -v[32:33]
	v_add_f64 v[24:25], v[50:51], -v[40:41]
	v_add_f64 v[26:27], v[26:27], v[52:53]
	v_add_f64 v[30:31], v[44:45], v[48:49]
	v_lshlrev_b64 v[56:57], 4, v[1:2]
	v_add_nc_u32_e32 v1, s8, v1
	ds_write_b128 v3, v[4:7]
	ds_write_b128 v3, v[8:11] offset:112
	ds_write_b128 v3, v[12:15] offset:224
	;; [unrolled: 1-line block ×6, first 2 shown]
	s_waitcnt lgkmcnt(0)
	s_barrier
	buffer_gl0_inv
	ds_read_b128 v[3:6], v58
	ds_read_b128 v[7:10], v59 offset:112
	ds_read_b128 v[11:14], v59 offset:224
	;; [unrolled: 1-line block ×6, first 2 shown]
	v_lshlrev_b64 v[34:35], 4, v[1:2]
	v_add_nc_u32_e32 v1, s8, v1
	v_add_co_u32 v32, vcc_lo, v60, v42
	v_add_co_ci_u32_e32 v33, vcc_lo, v61, v43, vcc_lo
	v_lshlrev_b64 v[40:41], 4, v[1:2]
	v_add_nc_u32_e32 v1, s8, v1
	v_add_co_u32 v38, vcc_lo, v60, v56
	v_add_co_ci_u32_e32 v39, vcc_lo, v61, v57, vcc_lo
	v_add_co_u32 v34, vcc_lo, v60, v34
	v_lshlrev_b64 v[0:1], 4, v[1:2]
	v_add_co_ci_u32_e32 v35, vcc_lo, v61, v35, vcc_lo
	v_add_co_u32 v40, vcc_lo, v60, v40
	v_add_co_ci_u32_e32 v41, vcc_lo, v61, v41, vcc_lo
	v_add_co_u32 v0, vcc_lo, v60, v0
	v_add_co_ci_u32_e32 v1, vcc_lo, v61, v1, vcc_lo
	s_waitcnt lgkmcnt(6)
	global_store_dwordx4 v[36:37], v[3:6], off
	s_waitcnt lgkmcnt(5)
	global_store_dwordx4 v[54:55], v[7:10], off
	;; [unrolled: 2-line block ×7, first 2 shown]
	s_endpgm
	.section	.rodata,"a",@progbits
	.p2align	6, 0x0
	.amdhsa_kernel fft_rtc_back_len49_factors_7_7_wgs_196_tpt_7_dp_op_CI_CI_sbrc_z_xy_aligned
		.amdhsa_group_segment_fixed_size 0
		.amdhsa_private_segment_fixed_size 0
		.amdhsa_kernarg_size 104
		.amdhsa_user_sgpr_count 6
		.amdhsa_user_sgpr_private_segment_buffer 1
		.amdhsa_user_sgpr_dispatch_ptr 0
		.amdhsa_user_sgpr_queue_ptr 0
		.amdhsa_user_sgpr_kernarg_segment_ptr 1
		.amdhsa_user_sgpr_dispatch_id 0
		.amdhsa_user_sgpr_flat_scratch_init 0
		.amdhsa_user_sgpr_private_segment_size 0
		.amdhsa_wavefront_size32 1
		.amdhsa_uses_dynamic_stack 0
		.amdhsa_system_sgpr_private_segment_wavefront_offset 0
		.amdhsa_system_sgpr_workgroup_id_x 1
		.amdhsa_system_sgpr_workgroup_id_y 0
		.amdhsa_system_sgpr_workgroup_id_z 0
		.amdhsa_system_sgpr_workgroup_info 0
		.amdhsa_system_vgpr_workitem_id 0
		.amdhsa_next_free_vgpr 62
		.amdhsa_next_free_sgpr 38
		.amdhsa_reserve_vcc 1
		.amdhsa_reserve_flat_scratch 0
		.amdhsa_float_round_mode_32 0
		.amdhsa_float_round_mode_16_64 0
		.amdhsa_float_denorm_mode_32 3
		.amdhsa_float_denorm_mode_16_64 3
		.amdhsa_dx10_clamp 1
		.amdhsa_ieee_mode 1
		.amdhsa_fp16_overflow 0
		.amdhsa_workgroup_processor_mode 1
		.amdhsa_memory_ordered 1
		.amdhsa_forward_progress 0
		.amdhsa_shared_vgpr_count 0
		.amdhsa_exception_fp_ieee_invalid_op 0
		.amdhsa_exception_fp_denorm_src 0
		.amdhsa_exception_fp_ieee_div_zero 0
		.amdhsa_exception_fp_ieee_overflow 0
		.amdhsa_exception_fp_ieee_underflow 0
		.amdhsa_exception_fp_ieee_inexact 0
		.amdhsa_exception_int_div_zero 0
	.end_amdhsa_kernel
	.text
.Lfunc_end0:
	.size	fft_rtc_back_len49_factors_7_7_wgs_196_tpt_7_dp_op_CI_CI_sbrc_z_xy_aligned, .Lfunc_end0-fft_rtc_back_len49_factors_7_7_wgs_196_tpt_7_dp_op_CI_CI_sbrc_z_xy_aligned
                                        ; -- End function
	.section	.AMDGPU.csdata,"",@progbits
; Kernel info:
; codeLenInByte = 3508
; NumSgprs: 40
; NumVgprs: 62
; ScratchSize: 0
; MemoryBound: 0
; FloatMode: 240
; IeeeMode: 1
; LDSByteSize: 0 bytes/workgroup (compile time only)
; SGPRBlocks: 4
; VGPRBlocks: 7
; NumSGPRsForWavesPerEU: 40
; NumVGPRsForWavesPerEU: 62
; Occupancy: 16
; WaveLimiterHint : 1
; COMPUTE_PGM_RSRC2:SCRATCH_EN: 0
; COMPUTE_PGM_RSRC2:USER_SGPR: 6
; COMPUTE_PGM_RSRC2:TRAP_HANDLER: 0
; COMPUTE_PGM_RSRC2:TGID_X_EN: 1
; COMPUTE_PGM_RSRC2:TGID_Y_EN: 0
; COMPUTE_PGM_RSRC2:TGID_Z_EN: 0
; COMPUTE_PGM_RSRC2:TIDIG_COMP_CNT: 0
	.text
	.p2alignl 6, 3214868480
	.fill 48, 4, 3214868480
	.type	__hip_cuid_5859b984162e7d37,@object ; @__hip_cuid_5859b984162e7d37
	.section	.bss,"aw",@nobits
	.globl	__hip_cuid_5859b984162e7d37
__hip_cuid_5859b984162e7d37:
	.byte	0                               ; 0x0
	.size	__hip_cuid_5859b984162e7d37, 1

	.ident	"AMD clang version 19.0.0git (https://github.com/RadeonOpenCompute/llvm-project roc-6.4.0 25133 c7fe45cf4b819c5991fe208aaa96edf142730f1d)"
	.section	".note.GNU-stack","",@progbits
	.addrsig
	.addrsig_sym __hip_cuid_5859b984162e7d37
	.amdgpu_metadata
---
amdhsa.kernels:
  - .args:
      - .actual_access:  read_only
        .address_space:  global
        .offset:         0
        .size:           8
        .value_kind:     global_buffer
      - .offset:         8
        .size:           8
        .value_kind:     by_value
      - .actual_access:  read_only
        .address_space:  global
        .offset:         16
        .size:           8
        .value_kind:     global_buffer
      - .actual_access:  read_only
        .address_space:  global
        .offset:         24
        .size:           8
        .value_kind:     global_buffer
      - .actual_access:  read_only
        .address_space:  global
        .offset:         32
        .size:           8
        .value_kind:     global_buffer
      - .offset:         40
        .size:           8
        .value_kind:     by_value
      - .actual_access:  read_only
        .address_space:  global
        .offset:         48
        .size:           8
        .value_kind:     global_buffer
      - .actual_access:  read_only
        .address_space:  global
        .offset:         56
        .size:           8
        .value_kind:     global_buffer
      - .offset:         64
        .size:           4
        .value_kind:     by_value
      - .actual_access:  read_only
        .address_space:  global
        .offset:         72
        .size:           8
        .value_kind:     global_buffer
      - .actual_access:  read_only
        .address_space:  global
        .offset:         80
        .size:           8
        .value_kind:     global_buffer
      - .actual_access:  read_only
        .address_space:  global
        .offset:         88
        .size:           8
        .value_kind:     global_buffer
      - .actual_access:  write_only
        .address_space:  global
        .offset:         96
        .size:           8
        .value_kind:     global_buffer
    .group_segment_fixed_size: 0
    .kernarg_segment_align: 8
    .kernarg_segment_size: 104
    .language:       OpenCL C
    .language_version:
      - 2
      - 0
    .max_flat_workgroup_size: 196
    .name:           fft_rtc_back_len49_factors_7_7_wgs_196_tpt_7_dp_op_CI_CI_sbrc_z_xy_aligned
    .private_segment_fixed_size: 0
    .sgpr_count:     40
    .sgpr_spill_count: 0
    .symbol:         fft_rtc_back_len49_factors_7_7_wgs_196_tpt_7_dp_op_CI_CI_sbrc_z_xy_aligned.kd
    .uniform_work_group_size: 1
    .uses_dynamic_stack: false
    .vgpr_count:     62
    .vgpr_spill_count: 0
    .wavefront_size: 32
    .workgroup_processor_mode: 1
amdhsa.target:   amdgcn-amd-amdhsa--gfx1030
amdhsa.version:
  - 1
  - 2
...

	.end_amdgpu_metadata
